;; amdgpu-corpus repo=ROCm/rocFFT kind=compiled arch=gfx950 opt=O3
	.text
	.amdgcn_target "amdgcn-amd-amdhsa--gfx950"
	.amdhsa_code_object_version 6
	.protected	fft_rtc_back_len343_factors_7_7_7_wgs_245_tpt_49_dp_ip_CI_sbcc_twdbase8_2step ; -- Begin function fft_rtc_back_len343_factors_7_7_7_wgs_245_tpt_49_dp_ip_CI_sbcc_twdbase8_2step
	.globl	fft_rtc_back_len343_factors_7_7_7_wgs_245_tpt_49_dp_ip_CI_sbcc_twdbase8_2step
	.p2align	8
	.type	fft_rtc_back_len343_factors_7_7_7_wgs_245_tpt_49_dp_ip_CI_sbcc_twdbase8_2step,@function
fft_rtc_back_len343_factors_7_7_7_wgs_245_tpt_49_dp_ip_CI_sbcc_twdbase8_2step: ; @fft_rtc_back_len343_factors_7_7_7_wgs_245_tpt_49_dp_ip_CI_sbcc_twdbase8_2step
; %bb.0:
	s_load_dwordx4 s[12:15], s[0:1], 0x18
	s_mov_b32 s3, 0
	s_mov_b64 s[26:27], 0
	s_waitcnt lgkmcnt(0)
	s_load_dwordx2 s[20:21], s[12:13], 0x8
	s_waitcnt lgkmcnt(0)
	s_add_u32 s4, s20, -1
	s_addc_u32 s5, s21, -1
	s_add_u32 s6, 0, 0x3330c000
	s_addc_u32 s7, 0, 0xb3
	s_mul_hi_u32 s9, s6, -5
	s_add_i32 s7, s7, 0x33333280
	s_sub_i32 s9, s9, s6
	s_mul_i32 s16, s7, -5
	s_mul_i32 s8, s6, -5
	s_add_i32 s9, s9, s16
	s_mul_hi_u32 s10, s7, s8
	s_mul_i32 s11, s7, s8
	s_mul_i32 s17, s6, s9
	s_mul_hi_u32 s8, s6, s8
	s_mul_hi_u32 s16, s6, s9
	s_add_u32 s8, s8, s17
	s_addc_u32 s16, 0, s16
	s_add_u32 s8, s8, s11
	s_mul_hi_u32 s17, s7, s9
	s_addc_u32 s8, s16, s10
	s_addc_u32 s10, s17, 0
	s_mul_i32 s9, s7, s9
	s_add_u32 s8, s8, s9
	v_mov_b32_e32 v1, s8
	s_addc_u32 s9, 0, s10
	v_add_co_u32_e32 v1, vcc, s6, v1
	s_cmp_lg_u64 vcc, 0
	s_addc_u32 s6, s7, s9
	v_readfirstlane_b32 s9, v1
	s_mul_i32 s8, s4, s6
	s_mul_hi_u32 s10, s4, s9
	s_mul_hi_u32 s7, s4, s6
	s_add_u32 s8, s10, s8
	s_addc_u32 s7, 0, s7
	s_mul_hi_u32 s11, s5, s9
	s_mul_i32 s9, s5, s9
	s_add_u32 s8, s8, s9
	s_mul_hi_u32 s10, s5, s6
	s_addc_u32 s7, s7, s11
	s_addc_u32 s8, s10, 0
	s_mul_i32 s6, s5, s6
	s_add_u32 s6, s7, s6
	s_addc_u32 s7, 0, s8
	s_add_u32 s8, s6, 1
	s_addc_u32 s9, s7, 0
	s_add_u32 s10, s6, 2
	s_mul_i32 s16, s7, 5
	s_mul_hi_u32 s17, s6, 5
	s_addc_u32 s11, s7, 0
	s_add_i32 s17, s17, s16
	s_mul_i32 s16, s6, 5
	v_mov_b32_e32 v1, s16
	v_sub_co_u32_e32 v1, vcc, s4, v1
	s_cmp_lg_u64 vcc, 0
	s_subb_u32 s4, s5, s17
	v_subrev_co_u32_e32 v2, vcc, 5, v1
	s_cmp_lg_u64 vcc, 0
	s_subb_u32 s5, s4, 0
	v_readfirstlane_b32 s16, v2
	s_cmp_gt_u32 s16, 4
	s_cselect_b32 s16, -1, 0
	s_cmp_eq_u32 s5, 0
	s_cselect_b32 s5, s16, -1
	s_cmp_lg_u32 s5, 0
	s_cselect_b32 s5, s10, s8
	s_cselect_b32 s8, s11, s9
	v_readfirstlane_b32 s9, v1
	s_cmp_gt_u32 s9, 4
	s_cselect_b32 s9, -1, 0
	s_cmp_eq_u32 s4, 0
	s_cselect_b32 s4, s9, -1
	s_cmp_lg_u32 s4, 0
	s_cselect_b32 s5, s5, s6
	s_cselect_b32 s4, s8, s7
	s_add_u32 s24, s5, 1
	s_addc_u32 s25, s4, 0
	v_mov_b64_e32 v[2:3], s[24:25]
	v_cmp_lt_u64_e32 vcc, s[2:3], v[2:3]
	s_cbranch_vccnz .LBB0_2
; %bb.1:
	v_cvt_f32_u32_e32 v1, s24
	s_sub_i32 s4, 0, s24
	s_mov_b32 s27, s3
	v_rcp_iflag_f32_e32 v1, v1
	s_nop 0
	v_mul_f32_e32 v1, 0x4f7ffffe, v1
	v_cvt_u32_f32_e32 v1, v1
	s_nop 0
	v_readfirstlane_b32 s5, v1
	s_mul_i32 s4, s4, s5
	s_mul_hi_u32 s4, s5, s4
	s_add_i32 s5, s5, s4
	s_mul_hi_u32 s4, s2, s5
	s_mul_i32 s6, s4, s24
	s_sub_i32 s6, s2, s6
	s_add_i32 s5, s4, 1
	s_sub_i32 s7, s6, s24
	s_cmp_ge_u32 s6, s24
	s_cselect_b32 s4, s5, s4
	s_cselect_b32 s6, s7, s6
	s_add_i32 s5, s4, 1
	s_cmp_ge_u32 s6, s24
	s_cselect_b32 s26, s5, s4
.LBB0_2:
	s_load_dwordx2 s[16:17], s[0:1], 0x58
	s_load_dwordx4 s[4:7], s[14:15], 0x0
	s_load_dwordx2 s[18:19], s[0:1], 0x0
	s_load_dwordx4 s[8:11], s[0:1], 0x8
	s_mul_i32 s0, s26, s25
	s_mul_hi_u32 s1, s26, s24
	s_add_i32 s1, s1, s0
	s_mul_i32 s0, s26, s24
	s_sub_u32 s0, s2, s0
	s_subb_u32 s1, 0, s1
	s_mul_i32 s1, s1, 5
	s_mul_hi_u32 s22, s0, 5
	s_add_i32 s23, s22, s1
	s_mul_i32 s22, s0, 5
	s_waitcnt lgkmcnt(0)
	s_mul_i32 s0, s6, s23
	s_mul_hi_u32 s1, s6, s22
	s_add_i32 s0, s1, s0
	s_mul_i32 s1, s7, s22
	s_add_i32 s33, s0, s1
	v_cmp_lt_u64_e64 s[0:1], s[10:11], 3
	s_mul_i32 s40, s6, s22
	s_and_b64 vcc, exec, s[0:1]
	s_cbranch_vccnz .LBB0_12
; %bb.3:
	s_add_u32 s28, s14, 16
	s_addc_u32 s29, s15, 0
	s_add_u32 s12, s12, 16
	s_addc_u32 s13, s13, 0
	s_mov_b64 s[30:31], 2
	s_mov_b32 s34, 0
	v_mov_b64_e32 v[2:3], s[10:11]
.LBB0_4:                                ; =>This Inner Loop Header: Depth=1
	s_load_dwordx2 s[36:37], s[12:13], 0x0
	s_waitcnt lgkmcnt(0)
	s_or_b64 s[0:1], s[26:27], s[36:37]
	s_mov_b32 s35, s1
	s_cmp_lg_u64 s[34:35], 0
	s_cbranch_scc0 .LBB0_9
; %bb.5:                                ;   in Loop: Header=BB0_4 Depth=1
	v_cvt_f32_u32_e32 v1, s36
	v_cvt_f32_u32_e32 v4, s37
	s_sub_u32 s0, 0, s36
	s_subb_u32 s1, 0, s37
	v_fmac_f32_e32 v1, 0x4f800000, v4
	v_rcp_f32_e32 v1, v1
	s_nop 0
	v_mul_f32_e32 v1, 0x5f7ffffc, v1
	v_mul_f32_e32 v4, 0x2f800000, v1
	v_trunc_f32_e32 v4, v4
	v_fmac_f32_e32 v1, 0xcf800000, v4
	v_cvt_u32_f32_e32 v4, v4
	v_cvt_u32_f32_e32 v1, v1
	v_readfirstlane_b32 s35, v4
	v_readfirstlane_b32 s38, v1
	s_mul_i32 s39, s0, s35
	s_mul_hi_u32 s42, s0, s38
	s_mul_i32 s41, s1, s38
	s_add_i32 s39, s42, s39
	s_mul_i32 s43, s0, s38
	s_add_i32 s39, s39, s41
	s_mul_hi_u32 s41, s38, s39
	s_mul_i32 s42, s38, s39
	s_mul_hi_u32 s38, s38, s43
	s_add_u32 s38, s38, s42
	s_addc_u32 s41, 0, s41
	s_mul_hi_u32 s44, s35, s43
	s_mul_i32 s43, s35, s43
	s_add_u32 s38, s38, s43
	s_mul_hi_u32 s42, s35, s39
	s_addc_u32 s38, s41, s44
	s_addc_u32 s41, s42, 0
	s_mul_i32 s39, s35, s39
	s_add_u32 s38, s38, s39
	s_addc_u32 s39, 0, s41
	v_add_co_u32_e32 v1, vcc, s38, v1
	s_cmp_lg_u64 vcc, 0
	s_addc_u32 s35, s35, s39
	v_readfirstlane_b32 s39, v1
	s_mul_i32 s38, s0, s35
	s_mul_hi_u32 s41, s0, s39
	s_add_i32 s38, s41, s38
	s_mul_i32 s1, s1, s39
	s_add_i32 s38, s38, s1
	s_mul_i32 s0, s0, s39
	s_mul_hi_u32 s41, s35, s0
	s_mul_i32 s42, s35, s0
	s_mul_i32 s44, s39, s38
	s_mul_hi_u32 s0, s39, s0
	s_mul_hi_u32 s43, s39, s38
	s_add_u32 s0, s0, s44
	s_addc_u32 s39, 0, s43
	s_add_u32 s0, s0, s42
	s_mul_hi_u32 s1, s35, s38
	s_addc_u32 s0, s39, s41
	s_addc_u32 s1, s1, 0
	s_mul_i32 s38, s35, s38
	s_add_u32 s0, s0, s38
	s_addc_u32 s1, 0, s1
	v_add_co_u32_e32 v1, vcc, s0, v1
	s_cmp_lg_u64 vcc, 0
	s_addc_u32 s0, s35, s1
	v_readfirstlane_b32 s38, v1
	s_mul_i32 s35, s26, s0
	s_mul_hi_u32 s39, s26, s38
	s_mul_hi_u32 s1, s26, s0
	s_add_u32 s35, s39, s35
	s_addc_u32 s1, 0, s1
	s_mul_hi_u32 s41, s27, s38
	s_mul_i32 s38, s27, s38
	s_add_u32 s35, s35, s38
	s_mul_hi_u32 s39, s27, s0
	s_addc_u32 s1, s1, s41
	s_addc_u32 s35, s39, 0
	s_mul_i32 s0, s27, s0
	s_add_u32 s38, s1, s0
	s_addc_u32 s35, 0, s35
	s_mul_i32 s0, s36, s35
	s_mul_hi_u32 s1, s36, s38
	s_add_i32 s0, s1, s0
	s_mul_i32 s1, s37, s38
	s_add_i32 s39, s0, s1
	s_mul_i32 s1, s36, s38
	v_mov_b32_e32 v1, s1
	s_sub_i32 s0, s27, s39
	v_sub_co_u32_e32 v1, vcc, s26, v1
	s_cmp_lg_u64 vcc, 0
	s_subb_u32 s41, s0, s37
	v_subrev_co_u32_e64 v4, s[0:1], s36, v1
	s_cmp_lg_u64 s[0:1], 0
	s_subb_u32 s0, s41, 0
	s_cmp_ge_u32 s0, s37
	v_readfirstlane_b32 s41, v4
	s_cselect_b32 s1, -1, 0
	s_cmp_ge_u32 s41, s36
	s_cselect_b32 s41, -1, 0
	s_cmp_eq_u32 s0, s37
	s_cselect_b32 s0, s41, s1
	s_add_u32 s1, s38, 1
	s_addc_u32 s41, s35, 0
	s_add_u32 s42, s38, 2
	s_addc_u32 s43, s35, 0
	s_cmp_lg_u32 s0, 0
	s_cselect_b32 s0, s42, s1
	s_cselect_b32 s1, s43, s41
	s_cmp_lg_u64 vcc, 0
	s_subb_u32 s39, s27, s39
	s_cmp_ge_u32 s39, s37
	v_readfirstlane_b32 s42, v1
	s_cselect_b32 s41, -1, 0
	s_cmp_ge_u32 s42, s36
	s_cselect_b32 s42, -1, 0
	s_cmp_eq_u32 s39, s37
	s_cselect_b32 s39, s42, s41
	s_cmp_lg_u32 s39, 0
	s_cselect_b32 s1, s1, s35
	s_cselect_b32 s0, s0, s38
	s_cbranch_execnz .LBB0_7
.LBB0_6:                                ;   in Loop: Header=BB0_4 Depth=1
	v_cvt_f32_u32_e32 v1, s36
	s_sub_i32 s0, 0, s36
	v_rcp_iflag_f32_e32 v1, v1
	s_nop 0
	v_mul_f32_e32 v1, 0x4f7ffffe, v1
	v_cvt_u32_f32_e32 v1, v1
	s_nop 0
	v_readfirstlane_b32 s1, v1
	s_mul_i32 s0, s0, s1
	s_mul_hi_u32 s0, s1, s0
	s_add_i32 s1, s1, s0
	s_mul_hi_u32 s0, s26, s1
	s_mul_i32 s35, s0, s36
	s_sub_i32 s35, s26, s35
	s_add_i32 s1, s0, 1
	s_sub_i32 s38, s35, s36
	s_cmp_ge_u32 s35, s36
	s_cselect_b32 s0, s1, s0
	s_cselect_b32 s35, s38, s35
	s_add_i32 s1, s0, 1
	s_cmp_ge_u32 s35, s36
	s_cselect_b32 s0, s1, s0
	s_mov_b32 s1, s34
.LBB0_7:                                ;   in Loop: Header=BB0_4 Depth=1
	s_mul_i32 s25, s36, s25
	s_mul_hi_u32 s35, s36, s24
	s_add_i32 s25, s35, s25
	s_mul_i32 s35, s37, s24
	s_add_i32 s25, s25, s35
	s_mul_i32 s35, s0, s37
	s_mul_hi_u32 s37, s0, s36
	s_load_dwordx2 s[38:39], s[28:29], 0x0
	s_add_i32 s35, s37, s35
	s_mul_i32 s37, s1, s36
	s_mul_i32 s24, s36, s24
	s_add_i32 s35, s35, s37
	s_mul_i32 s36, s0, s36
	s_sub_u32 s26, s26, s36
	s_subb_u32 s27, s27, s35
	s_waitcnt lgkmcnt(0)
	s_mul_i32 s27, s38, s27
	s_mul_hi_u32 s35, s38, s26
	s_add_i32 s27, s35, s27
	s_mul_i32 s35, s39, s26
	s_add_i32 s27, s27, s35
	s_mul_i32 s26, s38, s26
	s_add_u32 s40, s26, s40
	s_addc_u32 s33, s27, s33
	s_add_u32 s30, s30, 1
	s_addc_u32 s31, s31, 0
	;; [unrolled: 2-line block ×3, first 2 shown]
	s_add_u32 s12, s12, 8
	v_cmp_ge_u64_e32 vcc, s[30:31], v[2:3]
	s_addc_u32 s13, s13, 0
	s_cbranch_vccnz .LBB0_10
; %bb.8:                                ;   in Loop: Header=BB0_4 Depth=1
	s_mov_b64 s[26:27], s[0:1]
	s_branch .LBB0_4
.LBB0_9:                                ;   in Loop: Header=BB0_4 Depth=1
                                        ; implicit-def: $sgpr0_sgpr1
	s_branch .LBB0_6
.LBB0_10:
	v_mov_b64_e32 v[2:3], s[24:25]
	v_cmp_lt_u64_e32 vcc, s[2:3], v[2:3]
	s_mov_b64 s[26:27], 0
	s_cbranch_vccnz .LBB0_12
; %bb.11:
	v_cvt_f32_u32_e32 v1, s24
	s_sub_i32 s0, 0, s24
	v_rcp_iflag_f32_e32 v1, v1
	s_nop 0
	v_mul_f32_e32 v1, 0x4f7ffffe, v1
	v_cvt_u32_f32_e32 v1, v1
	s_nop 0
	v_readfirstlane_b32 s1, v1
	s_mul_i32 s0, s0, s1
	s_mul_hi_u32 s0, s1, s0
	s_add_i32 s1, s1, s0
	s_mul_hi_u32 s0, s2, s1
	s_mul_i32 s3, s0, s24
	s_sub_i32 s2, s2, s3
	s_add_i32 s1, s0, 1
	s_sub_i32 s3, s2, s24
	s_cmp_ge_u32 s2, s24
	s_cselect_b32 s0, s1, s0
	s_cselect_b32 s2, s3, s2
	s_add_i32 s1, s0, 1
	s_cmp_ge_u32 s2, s24
	s_cselect_b32 s26, s1, s0
.LBB0_12:
	s_lshl_b64 s[0:1], s[10:11], 3
	s_add_u32 s0, s14, s0
	s_addc_u32 s1, s15, s1
	s_load_dwordx2 s[0:1], s[0:1], 0x0
	v_mul_u32_u24_e32 v1, 0x3334, v0
	v_mov_b64_e32 v[2:3], s[20:21]
	v_lshrrev_b32_e32 v28, 16, v1
	v_mul_lo_u16_e32 v1, 5, v28
	s_waitcnt lgkmcnt(0)
	s_mul_i32 s1, s1, s26
	s_mul_hi_u32 s2, s0, s26
	s_mul_i32 s0, s0, s26
	s_add_i32 s1, s2, s1
	s_add_u32 s2, s0, s40
	s_addc_u32 s3, s1, s33
	s_add_u32 s0, s22, 5
	s_addc_u32 s1, s23, 0
	v_cmp_le_u64_e32 vcc, s[0:1], v[2:3]
	s_mov_b32 s0, 0
	v_sub_u16_e32 v2, v0, v1
	v_mov_b32_e32 v3, s0
	v_lshl_add_u64 v[4:5], s[22:23], 0, v[2:3]
	v_cmp_gt_u64_e64 s[0:1], s[20:21], v[4:5]
	s_or_b64 s[0:1], vcc, s[0:1]
	v_lshlrev_b32_e32 v29, 4, v28
	v_add_u32_e32 v3, 49, v28
	s_and_saveexec_b64 s[10:11], s[0:1]
	s_cbranch_execz .LBB0_14
; %bb.13:
	v_mad_u64_u32 v[4:5], s[12:13], s6, v2, 0
	v_mov_b32_e32 v6, v5
	v_mad_u64_u32 v[6:7], s[12:13], s7, v2, v[6:7]
	v_mov_b32_e32 v5, v6
	;; [unrolled: 2-line block ×3, first 2 shown]
	v_mad_u64_u32 v[8:9], s[12:13], s5, v28, v[8:9]
	s_lshl_b64 s[12:13], s[2:3], 4
	s_add_u32 s12, s16, s12
	s_addc_u32 s13, s17, s13
	v_mov_b32_e32 v7, v8
	v_lshl_add_u64 v[30:31], v[4:5], 4, s[12:13]
	v_mad_u64_u32 v[4:5], s[12:13], s4, v3, 0
	v_lshl_add_u64 v[12:13], v[6:7], 4, v[30:31]
	v_mov_b32_e32 v6, v5
	v_mad_u64_u32 v[6:7], s[12:13], s5, v3, v[6:7]
	v_mov_b32_e32 v5, v6
	v_add_u32_e32 v1, 0x62, v28
	v_lshl_add_u64 v[14:15], v[4:5], 4, v[30:31]
	global_load_dwordx4 v[4:7], v[12:13], off
	global_load_dwordx4 v[8:11], v[14:15], off
	v_mad_u64_u32 v[12:13], s[12:13], s4, v1, 0
	v_mov_b32_e32 v14, v13
	v_mad_u64_u32 v[14:15], s[12:13], s5, v1, v[14:15]
	v_mov_b32_e32 v13, v14
	v_add_u32_e32 v1, 0x93, v28
	v_lshl_add_u64 v[20:21], v[12:13], 4, v[30:31]
	v_mad_u64_u32 v[12:13], s[12:13], s4, v1, 0
	v_mov_b32_e32 v14, v13
	v_mad_u64_u32 v[14:15], s[12:13], s5, v1, v[14:15]
	v_mov_b32_e32 v13, v14
	v_add_u32_e32 v1, 0xc4, v28
	v_lshl_add_u64 v[22:23], v[12:13], 4, v[30:31]
	global_load_dwordx4 v[12:15], v[20:21], off
	global_load_dwordx4 v[16:19], v[22:23], off
	v_mad_u64_u32 v[20:21], s[12:13], s4, v1, 0
	v_mov_b32_e32 v22, v21
	v_mad_u64_u32 v[22:23], s[12:13], s5, v1, v[22:23]
	v_mov_b32_e32 v21, v22
	v_add_u32_e32 v1, 0xf5, v28
	v_lshl_add_u64 v[32:33], v[20:21], 4, v[30:31]
	v_mad_u64_u32 v[20:21], s[12:13], s4, v1, 0
	v_mov_b32_e32 v22, v21
	v_mad_u64_u32 v[22:23], s[12:13], s5, v1, v[22:23]
	v_mov_b32_e32 v21, v22
	v_lshl_add_u64 v[34:35], v[20:21], 4, v[30:31]
	global_load_dwordx4 v[20:23], v[32:33], off
	global_load_dwordx4 v[24:27], v[34:35], off
	v_add_u32_e32 v1, 0x126, v28
	v_mad_u64_u32 v[32:33], s[12:13], s4, v1, 0
	v_mov_b32_e32 v34, v33
	v_mad_u64_u32 v[34:35], s[12:13], s5, v1, v[34:35]
	v_mov_b32_e32 v33, v34
	v_lshl_add_u64 v[30:31], v[32:33], 4, v[30:31]
	global_load_dwordx4 v[30:33], v[30:31], off
	v_mul_u32_u24_e32 v1, 0x1570, v2
	v_add3_u32 v1, 0, v1, v29
	s_waitcnt vmcnt(6)
	ds_write_b128 v1, v[4:7]
	s_waitcnt vmcnt(5)
	ds_write_b128 v1, v[8:11] offset:784
	s_waitcnt vmcnt(4)
	ds_write_b128 v1, v[12:15] offset:1568
	;; [unrolled: 2-line block ×6, first 2 shown]
.LBB0_14:
	s_or_b64 exec, exec, s[10:11]
	s_movk_i32 s10, 0x53a
	v_mul_u32_u24_sdwa v1, v0, s10 dst_sel:DWORD dst_unused:UNUSED_PAD src0_sel:WORD_0 src1_sel:DWORD
	s_add_u32 s10, 0, 0x3330c000
	s_addc_u32 s11, 0, 0xb3
	s_add_i32 s11, s11, 0x33333280
	s_mul_hi_u32 s15, s10, -5
	s_sub_i32 s15, s15, s10
	s_mul_i32 s20, s11, -5
	s_mul_i32 s12, s10, -5
	s_add_i32 s15, s15, s20
	s_mul_hi_u32 s13, s11, s12
	s_mul_i32 s14, s11, s12
	s_mul_i32 s21, s10, s15
	s_mul_hi_u32 s12, s10, s12
	s_mul_hi_u32 s20, s10, s15
	s_add_u32 s12, s12, s21
	s_addc_u32 s20, 0, s20
	s_add_u32 s12, s12, s14
	s_mul_hi_u32 s21, s11, s15
	s_addc_u32 s12, s20, s13
	s_addc_u32 s13, s21, 0
	s_mul_i32 s14, s11, s15
	s_add_u32 s12, s12, s14
	v_lshrrev_b32_e32 v6, 16, v1
	v_mov_b32_e32 v1, s12
	s_addc_u32 s13, 0, s13
	v_add_co_u32_e32 v1, vcc, s10, v1
	v_mov_b32_e32 v7, 0
	s_cmp_lg_u64 vcc, 0
	v_lshl_add_u64 v[4:5], s[22:23], 0, v[6:7]
	s_addc_u32 s12, s11, s13
	v_mad_u64_u32 v[8:9], s[10:11], v4, s12, 0
	v_mul_hi_u32 v10, v4, v1
	v_mov_b32_e32 v11, v7
	v_lshl_add_u64 v[8:9], v[10:11], 0, v[8:9]
	v_mad_u64_u32 v[12:13], s[10:11], v5, v1, 0
	v_add_co_u32_e32 v1, vcc, v8, v12
	v_mad_u64_u32 v[10:11], s[10:11], v5, s12, 0
	s_nop 0
	v_addc_co_u32_e32 v8, vcc, v9, v13, vcc
	v_mov_b32_e32 v9, v7
	s_nop 0
	v_addc_co_u32_e32 v11, vcc, 0, v11, vcc
	v_lshl_add_u64 v[8:9], v[8:9], 0, v[10:11]
	v_mad_u64_u32 v[10:11], s[10:11], v8, 5, 0
	v_mov_b32_e32 v8, v11
	v_mad_u64_u32 v[8:9], s[10:11], v9, 5, v[8:9]
	v_sub_co_u32_e32 v1, vcc, v4, v10
	s_waitcnt lgkmcnt(0)
	s_nop 0
	v_subb_co_u32_e32 v5, vcc, v5, v8, vcc
	v_subrev_co_u32_e32 v7, vcc, 5, v1
	s_barrier
	s_nop 0
	v_subbrev_co_u32_e32 v8, vcc, 0, v5, vcc
	v_cmp_lt_u32_e32 vcc, 4, v7
	s_mov_b32 s10, 0x37e14327
	s_nop 0
	v_cndmask_b32_e64 v9, 0, -1, vcc
	v_cmp_eq_u32_e32 vcc, 0, v8
	s_mov_b32 s12, 0x36b3c0b5
	s_mov_b32 s14, 0xe976ee23
	v_cndmask_b32_e32 v8, -1, v9, vcc
	v_add_u32_e32 v9, -5, v7
	v_cmp_ne_u32_e32 vcc, 0, v8
	s_mov_b32 s20, 0x429ad128
	s_mov_b32 s22, 0xaaaaaaaa
	v_cndmask_b32_e32 v7, v7, v9, vcc
	v_cmp_lt_u32_e32 vcc, 4, v1
	s_mov_b32 s11, 0x3fe948f6
	s_mov_b32 s13, 0x3fac98ee
	v_cndmask_b32_e64 v8, 0, -1, vcc
	v_cmp_eq_u32_e32 vcc, 0, v5
	s_mov_b32 s15, 0x3fe11646
	s_mov_b32 s21, 0xbfebfeb5
	v_cndmask_b32_e32 v5, -1, v8, vcc
	v_cmp_ne_u32_e32 vcc, 0, v5
	v_mul_lo_u16_e32 v5, 49, v6
	v_sub_u16_e32 v30, v0, v5
	v_cndmask_b32_e32 v1, v1, v7, vcc
	v_mul_u32_u24_e32 v1, 0x157, v1
	v_lshlrev_b32_e32 v0, 4, v1
	v_lshlrev_b32_e32 v1, 4, v30
	v_add3_u32 v31, 0, v0, v1
	v_add3_u32 v5, 0, v1, v0
	ds_read_b128 v[6:9], v31
	ds_read_b128 v[10:13], v5 offset:784
	ds_read_b128 v[14:17], v5 offset:4704
	;; [unrolled: 1-line block ×6, first 2 shown]
	s_waitcnt lgkmcnt(4)
	v_add_f64 v[26:27], v[10:11], v[14:15]
	v_add_f64 v[10:11], v[10:11], -v[14:15]
	v_add_f64 v[40:41], v[12:13], v[16:17]
	v_add_f64 v[12:13], v[12:13], -v[16:17]
	s_waitcnt lgkmcnt(0)
	v_add_f64 v[14:15], v[18:19], v[36:37]
	v_add_f64 v[16:17], v[20:21], v[38:39]
	v_add_f64 v[18:19], v[18:19], -v[36:37]
	v_add_f64 v[36:37], v[22:23], v[32:33]
	v_add_f64 v[22:23], v[32:33], -v[22:23]
	;; [unrolled: 2-line block ×4, first 2 shown]
	v_add_f64 v[34:35], v[16:17], v[40:41]
	v_add_f64 v[32:33], v[36:37], v[32:33]
	;; [unrolled: 1-line block ×4, first 2 shown]
	v_add_f64 v[42:43], v[14:15], -v[26:27]
	v_add_f64 v[44:45], v[16:17], -v[40:41]
	;; [unrolled: 1-line block ×6, first 2 shown]
	v_add_f64 v[46:47], v[22:23], v[18:19]
	v_add_f64 v[48:49], v[24:25], v[20:21]
	v_add_f64 v[50:51], v[22:23], -v[18:19]
	v_add_f64 v[52:53], v[24:25], -v[20:21]
	;; [unrolled: 1-line block ×4, first 2 shown]
	v_add_f64 v[8:9], v[8:9], v[34:35]
	s_mov_b32 s23, 0xbff2aaaa
	v_mov_b64_e32 v[54:55], v[6:7]
	s_mov_b32 s24, 0x5476071b
	s_mov_b32 s26, 0xb247c609
	v_add_f64 v[22:23], v[10:11], -v[22:23]
	v_add_f64 v[24:25], v[12:13], -v[24:25]
	v_add_f64 v[10:11], v[46:47], v[10:11]
	v_add_f64 v[12:13], v[48:49], v[12:13]
	v_mul_f64 v[26:27], v[26:27], s[10:11]
	v_mul_f64 v[36:37], v[40:41], s[10:11]
	;; [unrolled: 1-line block ×8, first 2 shown]
	v_fmac_f64_e32 v[54:55], s[22:23], v[32:33]
	v_mov_b64_e32 v[32:33], v[8:9]
	s_mov_b32 s25, 0x3fe77f67
	s_mov_b32 s29, 0xbfe77f67
	;; [unrolled: 1-line block ×7, first 2 shown]
	v_fmac_f64_e32 v[32:33], s[22:23], v[34:35]
	v_fma_f64 v[34:35], v[42:43], s[24:25], -v[38:39]
	v_fma_f64 v[38:39], v[44:45], s[24:25], -v[40:41]
	;; [unrolled: 1-line block ×3, first 2 shown]
	v_fmac_f64_e32 v[26:27], s[12:13], v[14:15]
	v_fma_f64 v[14:15], v[44:45], s[28:29], -v[36:37]
	v_fmac_f64_e32 v[36:37], s[12:13], v[16:17]
	v_fma_f64 v[42:43], v[18:19], s[20:21], -v[46:47]
	;; [unrolled: 2-line block ×4, first 2 shown]
	v_fma_f64 v[52:53], v[24:25], s[34:35], -v[52:53]
	s_mov_b32 s31, 0xbfdc38aa
	s_movk_i32 s33, 0x60
	v_add_f64 v[26:27], v[26:27], v[54:55]
	v_add_f64 v[56:57], v[36:37], v[32:33]
	;; [unrolled: 1-line block ×6, first 2 shown]
	v_fmac_f64_e32 v[46:47], s[30:31], v[10:11]
	v_fmac_f64_e32 v[48:49], s[30:31], v[12:13]
	;; [unrolled: 1-line block ×6, first 2 shown]
	v_mad_u32_u24 v1, v30, s33, v5
	v_add_f64 v[10:11], v[26:27], v[48:49]
	v_add_f64 v[12:13], v[56:57], -v[46:47]
	v_add_f64 v[14:15], v[34:35], v[52:53]
	v_add_f64 v[16:17], v[36:37], -v[50:51]
	v_add_f64 v[18:19], v[22:23], -v[44:45]
	v_add_f64 v[20:21], v[42:43], v[24:25]
	v_add_f64 v[22:23], v[22:23], v[44:45]
	v_add_f64 v[24:25], v[24:25], -v[42:43]
	v_add_f64 v[32:33], v[34:35], -v[52:53]
	v_add_f64 v[34:35], v[50:51], v[36:37]
	v_add_f64 v[36:37], v[26:27], -v[48:49]
	v_add_f64 v[38:39], v[46:47], v[56:57]
	s_barrier
	ds_write_b128 v1, v[6:9]
	ds_write_b128 v1, v[10:13] offset:16
	ds_write_b128 v1, v[14:17] offset:32
	;; [unrolled: 1-line block ×6, first 2 shown]
	v_mov_b32_e32 v1, 37
	v_mul_lo_u16_sdwa v1, v30, v1 dst_sel:DWORD dst_unused:UNUSED_PAD src0_sel:BYTE_0 src1_sel:DWORD
	v_sub_u16_sdwa v6, v30, v1 dst_sel:DWORD dst_unused:UNUSED_PAD src0_sel:DWORD src1_sel:BYTE_1
	v_lshrrev_b16_e32 v6, 1, v6
	v_and_b32_e32 v6, 0x7f, v6
	v_add_u16_sdwa v1, v6, v1 dst_sel:DWORD dst_unused:UNUSED_PAD src0_sel:DWORD src1_sel:BYTE_1
	v_lshrrev_b16_e32 v1, 2, v1
	v_mul_lo_u16_e32 v6, 7, v1
	v_sub_u16_e32 v58, v30, v6
	v_mov_b32_e32 v6, 6
	v_mul_u32_u24_sdwa v6, v58, v6 dst_sel:DWORD dst_unused:UNUSED_PAD src0_sel:BYTE_0 src1_sel:DWORD
	v_lshlrev_b32_e32 v26, 4, v6
	s_waitcnt lgkmcnt(0)
	s_barrier
	global_load_dwordx4 v[6:9], v26, s[18:19]
	global_load_dwordx4 v[10:13], v26, s[18:19] offset:16
	global_load_dwordx4 v[14:17], v26, s[18:19] offset:32
	;; [unrolled: 1-line block ×5, first 2 shown]
	ds_read_b128 v[36:39], v5 offset:784
	ds_read_b128 v[40:43], v31
	ds_read_b128 v[44:47], v5 offset:1568
	ds_read_b128 v[48:51], v5 offset:2352
	s_movk_i32 s33, 0x310
	v_mad_u32_u24 v1, v1, s33, 0
	v_mov_b32_e32 v68, 0x1000
	s_waitcnt vmcnt(5) lgkmcnt(3)
	v_mul_f64 v[26:27], v[38:39], v[8:9]
	v_mul_f64 v[8:9], v[36:37], v[8:9]
	v_fmac_f64_e32 v[26:27], v[36:37], v[6:7]
	v_fma_f64 v[36:37], v[38:39], v[6:7], -v[8:9]
	ds_read_b128 v[6:9], v5 offset:3136
	s_waitcnt vmcnt(4) lgkmcnt(2)
	v_mul_f64 v[38:39], v[46:47], v[12:13]
	v_mul_f64 v[12:13], v[44:45], v[12:13]
	v_fmac_f64_e32 v[38:39], v[44:45], v[10:11]
	v_fma_f64 v[44:45], v[46:47], v[10:11], -v[12:13]
	ds_read_b128 v[10:13], v5 offset:3920
	;; [unrolled: 6-line block ×3, first 2 shown]
	s_waitcnt vmcnt(2) lgkmcnt(2)
	v_mul_f64 v[50:51], v[8:9], v[20:21]
	v_fmac_f64_e32 v[50:51], v[6:7], v[18:19]
	v_mul_f64 v[6:7], v[6:7], v[20:21]
	v_fma_f64 v[6:7], v[8:9], v[18:19], -v[6:7]
	s_waitcnt vmcnt(1) lgkmcnt(1)
	v_mul_f64 v[8:9], v[12:13], v[24:25]
	v_fmac_f64_e32 v[8:9], v[10:11], v[22:23]
	v_mul_f64 v[10:11], v[10:11], v[24:25]
	v_fma_f64 v[10:11], v[12:13], v[22:23], -v[10:11]
	s_waitcnt vmcnt(0) lgkmcnt(0)
	v_mul_f64 v[12:13], v[16:17], v[34:35]
	v_fmac_f64_e32 v[12:13], v[14:15], v[32:33]
	v_mul_f64 v[14:15], v[14:15], v[34:35]
	v_fma_f64 v[14:15], v[16:17], v[32:33], -v[14:15]
	v_add_f64 v[16:17], v[26:27], v[12:13]
	v_add_f64 v[20:21], v[38:39], v[8:9]
	v_add_f64 v[18:19], v[36:37], v[14:15]
	v_add_f64 v[22:23], v[44:45], v[10:11]
	v_add_f64 v[24:25], v[46:47], v[50:51]
	v_add_f64 v[34:35], v[20:21], v[16:17]
	v_add_f64 v[12:13], v[26:27], -v[12:13]
	v_add_f64 v[14:15], v[36:37], -v[14:15]
	;; [unrolled: 1-line block ×4, first 2 shown]
	v_add_f64 v[26:27], v[48:49], v[6:7]
	v_add_f64 v[6:7], v[6:7], -v[48:49]
	v_add_f64 v[36:37], v[22:23], v[18:19]
	v_add_f64 v[38:39], v[20:21], -v[16:17]
	v_add_f64 v[16:17], v[16:17], -v[24:25]
	;; [unrolled: 1-line block ×3, first 2 shown]
	v_add_f64 v[24:25], v[24:25], v[34:35]
	v_add_f64 v[32:33], v[50:51], -v[46:47]
	v_add_f64 v[44:45], v[22:23], -v[18:19]
	;; [unrolled: 1-line block ×4, first 2 shown]
	v_add_f64 v[48:49], v[6:7], v[10:11]
	v_add_f64 v[52:53], v[6:7], -v[10:11]
	v_add_f64 v[54:55], v[14:15], -v[6:7]
	v_add_f64 v[26:27], v[26:27], v[36:37]
	v_add_f64 v[6:7], v[40:41], v[24:25]
	;; [unrolled: 1-line block ×3, first 2 shown]
	v_add_f64 v[50:51], v[32:33], -v[8:9]
	v_add_f64 v[56:57], v[8:9], -v[12:13]
	;; [unrolled: 1-line block ×3, first 2 shown]
	v_add_f64 v[14:15], v[48:49], v[14:15]
	v_add_f64 v[8:9], v[42:43], v[26:27]
	v_mov_b64_e32 v[48:49], v[6:7]
	v_add_f64 v[32:33], v[12:13], -v[32:33]
	v_add_f64 v[12:13], v[46:47], v[12:13]
	v_mul_f64 v[16:17], v[16:17], s[10:11]
	v_mul_f64 v[18:19], v[18:19], s[10:11]
	;; [unrolled: 1-line block ×6, first 2 shown]
	v_fmac_f64_e32 v[48:49], s[22:23], v[24:25]
	v_mov_b64_e32 v[24:25], v[8:9]
	v_mul_f64 v[42:43], v[52:53], s[14:15]
	v_fmac_f64_e32 v[24:25], s[22:23], v[26:27]
	v_mul_f64 v[26:27], v[10:11], s[20:21]
	v_fma_f64 v[34:35], v[38:39], s[24:25], -v[34:35]
	v_fma_f64 v[36:37], v[44:45], s[24:25], -v[36:37]
	v_fma_f64 v[38:39], v[38:39], s[28:29], -v[16:17]
	v_fmac_f64_e32 v[16:17], s[12:13], v[20:21]
	v_fma_f64 v[20:21], v[44:45], s[28:29], -v[18:19]
	v_fma_f64 v[44:45], v[56:57], s[20:21], -v[40:41]
	v_fmac_f64_e32 v[40:41], s[26:27], v[32:33]
	v_fma_f64 v[32:33], v[32:33], s[34:35], -v[46:47]
	v_fmac_f64_e32 v[18:19], s[12:13], v[22:23]
	v_fma_f64 v[22:23], v[10:11], s[20:21], -v[42:43]
	v_fma_f64 v[26:27], v[54:55], s[34:35], -v[26:27]
	v_add_f64 v[46:47], v[16:17], v[48:49]
	v_add_f64 v[34:35], v[34:35], v[48:49]
	;; [unrolled: 1-line block ×5, first 2 shown]
	v_fmac_f64_e32 v[44:45], s[30:31], v[12:13]
	v_fmac_f64_e32 v[32:33], s[30:31], v[12:13]
	;; [unrolled: 1-line block ×3, first 2 shown]
	v_add_f64 v[50:51], v[18:19], v[24:25]
	v_fmac_f64_e32 v[22:23], s[30:31], v[14:15]
	v_fmac_f64_e32 v[26:27], s[30:31], v[14:15]
	v_add_f64 v[16:17], v[48:49], -v[32:33]
	v_add_f64 v[20:21], v[44:45], v[36:37]
	v_add_f64 v[24:25], v[36:37], -v[44:45]
	v_add_f64 v[36:37], v[32:33], v[48:49]
	v_mov_b32_e32 v32, 4
	v_fmac_f64_e32 v[42:43], s[30:31], v[14:15]
	v_add_f64 v[14:15], v[26:27], v[38:39]
	v_add_f64 v[18:19], v[34:35], -v[22:23]
	v_add_f64 v[22:23], v[22:23], v[34:35]
	v_add_f64 v[34:35], v[38:39], -v[26:27]
	v_lshlrev_b32_sdwa v26, v32, v58 dst_sel:DWORD dst_unused:UNUSED_PAD src0_sel:DWORD src1_sel:BYTE_0
	v_fmac_f64_e32 v[40:41], s[30:31], v[12:13]
	v_add3_u32 v0, v1, v26, v0
	v_add_f64 v[10:11], v[42:43], v[46:47]
	v_add_f64 v[12:13], v[50:51], -v[40:41]
	v_add_f64 v[38:39], v[46:47], -v[42:43]
	v_add_f64 v[40:41], v[40:41], v[50:51]
	s_barrier
	ds_write_b128 v0, v[6:9]
	ds_write_b128 v0, v[10:13] offset:112
	ds_write_b128 v0, v[14:17] offset:224
	;; [unrolled: 1-line block ×6, first 2 shown]
	v_mul_u32_u24_e32 v0, 6, v30
	v_lshlrev_b32_e32 v0, 4, v0
	s_waitcnt lgkmcnt(0)
	s_barrier
	global_load_dwordx4 v[6:9], v0, s[18:19] offset:672
	global_load_dwordx4 v[10:13], v0, s[18:19] offset:688
	;; [unrolled: 1-line block ×6, first 2 shown]
	ds_read_b128 v[38:41], v5 offset:784
	ds_read_b128 v[42:45], v5 offset:1568
	ds_read_b128 v[46:49], v5 offset:2352
	ds_read_b128 v[50:53], v5 offset:3136
	v_mul_lo_u32 v33, v4, v30
	s_waitcnt vmcnt(5) lgkmcnt(3)
	v_mul_f64 v[0:1], v[40:41], v[8:9]
	v_mul_f64 v[8:9], v[38:39], v[8:9]
	v_fmac_f64_e32 v[0:1], v[38:39], v[6:7]
	v_fma_f64 v[6:7], v[40:41], v[6:7], -v[8:9]
	ds_read_b128 v[38:41], v5 offset:3920
	s_waitcnt vmcnt(4) lgkmcnt(3)
	v_mul_f64 v[8:9], v[44:45], v[12:13]
	v_mul_f64 v[12:13], v[42:43], v[12:13]
	v_fmac_f64_e32 v[8:9], v[42:43], v[10:11]
	v_fma_f64 v[12:13], v[44:45], v[10:11], -v[12:13]
	ds_read_b128 v[42:45], v5 offset:4704
	s_waitcnt vmcnt(3) lgkmcnt(3)
	v_mul_f64 v[10:11], v[48:49], v[16:17]
	v_mul_f64 v[16:17], v[46:47], v[16:17]
	v_fmac_f64_e32 v[10:11], v[46:47], v[14:15]
	v_fma_f64 v[14:15], v[48:49], v[14:15], -v[16:17]
	s_waitcnt vmcnt(2) lgkmcnt(2)
	v_mul_f64 v[16:17], v[52:53], v[20:21]
	v_mul_f64 v[20:21], v[50:51], v[20:21]
	v_fmac_f64_e32 v[16:17], v[50:51], v[18:19]
	v_fma_f64 v[18:19], v[52:53], v[18:19], -v[20:21]
	;; [unrolled: 5-line block ×3, first 2 shown]
	s_waitcnt vmcnt(0) lgkmcnt(0)
	v_mul_f64 v[24:25], v[44:45], v[36:37]
	v_fmac_f64_e32 v[24:25], v[42:43], v[34:35]
	v_mul_f64 v[26:27], v[42:43], v[36:37]
	v_lshlrev_b32_sdwa v42, v32, v33 dst_sel:DWORD dst_unused:UNUSED_PAD src0_sel:DWORD src1_sel:BYTE_0
	v_bfe_u32 v33, v33, 8, 8
	v_lshl_or_b32 v33, v33, 4, v68
	v_fma_f64 v[26:27], v[44:45], v[34:35], -v[26:27]
	global_load_dwordx4 v[34:37], v42, s[8:9]
	global_load_dwordx4 v[38:41], v33, s[8:9]
	v_add_u32_e32 v33, 49, v30
	v_mul_lo_u32 v33, v4, v33
	v_lshlrev_b32_sdwa v50, v32, v33 dst_sel:DWORD dst_unused:UNUSED_PAD src0_sel:DWORD src1_sel:BYTE_0
	v_bfe_u32 v33, v33, 8, 8
	v_lshl_or_b32 v33, v33, 4, v68
	global_load_dwordx4 v[42:45], v50, s[8:9]
	global_load_dwordx4 v[46:49], v33, s[8:9]
	v_add_u32_e32 v33, 0x62, v30
	v_mul_lo_u32 v33, v4, v33
	s_waitcnt vmcnt(2)
	v_mul_f64 v[50:51], v[36:37], v[40:41]
	v_fma_f64 v[50:51], v[34:35], v[38:39], -v[50:51]
	v_mul_f64 v[52:53], v[34:35], v[40:41]
	v_fmac_f64_e32 v[52:53], v[36:37], v[38:39]
	s_waitcnt vmcnt(0)
	v_mul_f64 v[34:35], v[44:45], v[48:49]
	v_fma_f64 v[54:55], v[42:43], v[46:47], -v[34:35]
	v_lshlrev_b32_sdwa v34, v32, v33 dst_sel:DWORD dst_unused:UNUSED_PAD src0_sel:DWORD src1_sel:BYTE_0
	v_bfe_u32 v33, v33, 8, 8
	v_lshl_or_b32 v33, v33, 4, v68
	global_load_dwordx4 v[34:37], v34, s[8:9]
	v_mul_f64 v[42:43], v[42:43], v[48:49]
	global_load_dwordx4 v[38:41], v33, s[8:9]
	v_fmac_f64_e32 v[42:43], v[44:45], v[46:47]
	v_add_f64 v[44:45], v[0:1], v[24:25]
	v_add_f64 v[46:47], v[6:7], v[26:27]
	v_add_f64 v[0:1], v[0:1], -v[24:25]
	v_add_f64 v[6:7], v[6:7], -v[26:27]
	v_add_f64 v[24:25], v[8:9], v[20:21]
	v_add_f64 v[26:27], v[12:13], v[22:23]
	v_add_f64 v[12:13], v[12:13], -v[22:23]
	v_add_f64 v[22:23], v[14:15], v[18:19]
	v_add_f64 v[14:15], v[18:19], -v[14:15]
	v_add_f64 v[8:9], v[8:9], -v[20:21]
	v_add_f64 v[20:21], v[10:11], v[16:17]
	v_add_f64 v[10:11], v[16:17], -v[10:11]
	v_add_f64 v[16:17], v[24:25], v[44:45]
	v_add_f64 v[16:17], v[20:21], v[16:17]
	v_add_f64 v[56:57], v[8:9], -v[0:1]
	s_waitcnt vmcnt(0)
	v_mul_f64 v[18:19], v[36:37], v[40:41]
	v_fma_f64 v[48:49], v[34:35], v[38:39], -v[18:19]
	v_mul_f64 v[34:35], v[34:35], v[40:41]
	v_fmac_f64_e32 v[34:35], v[36:37], v[38:39]
	v_add_f64 v[18:19], v[26:27], v[46:47]
	v_add_f64 v[36:37], v[24:25], -v[44:45]
	v_add_f64 v[38:39], v[26:27], -v[46:47]
	v_add_f64 v[40:41], v[44:45], -v[20:21]
	v_add_f64 v[44:45], v[46:47], -v[22:23]
	v_add_f64 v[24:25], v[20:21], -v[24:25]
	v_add_f64 v[46:47], v[10:11], v[8:9]
	v_add_f64 v[20:21], v[14:15], v[12:13]
	v_add_f64 v[26:27], v[22:23], -v[26:27]
	v_add_f64 v[18:19], v[22:23], v[18:19]
	v_add_f64 v[22:23], v[10:11], -v[8:9]
	v_add_f64 v[10:11], v[0:1], -v[10:11]
	v_add_f64 v[0:1], v[46:47], v[0:1]
	v_add_f64 v[46:47], v[14:15], -v[12:13]
	v_add_f64 v[14:15], v[6:7], -v[14:15]
	;; [unrolled: 1-line block ×3, first 2 shown]
	v_add_f64 v[20:21], v[20:21], v[6:7]
	ds_read_b128 v[6:9], v31
	v_mul_f64 v[22:23], v[22:23], s[14:15]
	s_waitcnt lgkmcnt(0)
	v_add_f64 v[58:59], v[6:7], v[16:17]
	v_mul_f64 v[6:7], v[40:41], s[10:11]
	v_mul_f64 v[40:41], v[24:25], s[12:13]
	v_fma_f64 v[24:25], s[12:13], v[24:25], v[6:7]
	v_fma_f64 v[40:41], v[36:37], s[24:25], -v[40:41]
	v_fma_f64 v[6:7], v[36:37], s[28:29], -v[6:7]
	v_mul_f64 v[36:37], v[44:45], s[10:11]
	v_mul_f64 v[44:45], v[26:27], s[12:13]
	v_add_f64 v[8:9], v[8:9], v[18:19]
	v_fma_f64 v[44:45], v[38:39], s[24:25], -v[44:45]
	v_fma_f64 v[38:39], v[38:39], s[28:29], -v[36:37]
	v_fmac_f64_e32 v[36:37], s[12:13], v[26:27]
	v_mul_f64 v[26:27], v[56:57], s[20:21]
	v_fma_f64 v[16:17], s[22:23], v[16:17], v[58:59]
	v_fma_f64 v[56:57], v[56:57], s[20:21], -v[22:23]
	v_fma_f64 v[22:23], s[26:27], v[10:11], v[22:23]
	v_fma_f64 v[10:11], v[10:11], s[34:35], -v[26:27]
	v_add_f64 v[24:25], v[24:25], v[16:17]
	v_add_f64 v[40:41], v[40:41], v[16:17]
	;; [unrolled: 1-line block ×3, first 2 shown]
	v_fma_f64 v[16:17], s[22:23], v[18:19], v[8:9]
	v_add_f64 v[18:19], v[36:37], v[16:17]
	v_add_f64 v[36:37], v[44:45], v[16:17]
	;; [unrolled: 1-line block ×3, first 2 shown]
	v_fmac_f64_e32 v[10:11], s[30:31], v[0:1]
	v_add_f64 v[62:63], v[16:17], -v[10:11]
	v_add_f64 v[64:65], v[10:11], v[16:17]
	v_add_u32_e32 v10, 0x93, v30
	v_mul_f64 v[26:27], v[46:47], s[14:15]
	v_mul_lo_u32 v10, v4, v10
	v_mul_f64 v[46:47], v[12:13], s[20:21]
	v_fma_f64 v[12:13], v[12:13], s[20:21], -v[26:27]
	v_lshlrev_b32_sdwa v11, v32, v10 dst_sel:DWORD dst_unused:UNUSED_PAD src0_sel:DWORD src1_sel:BYTE_0
	v_bfe_u32 v10, v10, 8, 8
	v_fmac_f64_e32 v[26:27], s[26:27], v[14:15]
	v_fma_f64 v[14:15], v[14:15], s[34:35], -v[46:47]
	v_fmac_f64_e32 v[22:23], s[30:31], v[0:1]
	v_fmac_f64_e32 v[12:13], s[30:31], v[20:21]
	v_lshl_or_b32 v16, v10, 4, v68
	v_fmac_f64_e32 v[26:27], s[30:31], v[20:21]
	v_fmac_f64_e32 v[14:15], s[30:31], v[20:21]
	v_add_f64 v[38:39], v[18:19], -v[22:23]
	v_add_f64 v[44:45], v[40:41], -v[12:13]
	v_add_f64 v[46:47], v[12:13], v[40:41]
	v_add_f64 v[66:67], v[22:23], v[18:19]
	global_load_dwordx4 v[10:13], v11, s[8:9]
	v_fmac_f64_e32 v[56:57], s[30:31], v[0:1]
	global_load_dwordx4 v[18:21], v16, s[8:9]
	v_add_f64 v[40:41], v[56:57], v[36:37]
	v_add_f64 v[56:57], v[36:37], -v[56:57]
	v_add_f64 v[36:37], v[14:15], v[6:7]
	v_add_f64 v[60:61], v[6:7], -v[14:15]
	v_mul_f64 v[14:15], v[58:59], v[52:53]
	v_add_f64 v[0:1], v[26:27], v[24:25]
	v_mul_f64 v[6:7], v[8:9], v[52:53]
	v_fma_f64 v[8:9], v[8:9], v[50:51], -v[14:15]
	v_mul_f64 v[14:15], v[38:39], v[42:43]
	v_add_f64 v[26:27], v[24:25], -v[26:27]
	v_fmac_f64_e32 v[14:15], v[0:1], v[54:55]
	v_mul_f64 v[0:1], v[0:1], v[42:43]
	v_fma_f64 v[16:17], v[38:39], v[54:55], -v[0:1]
	v_mul_f64 v[22:23], v[62:63], v[34:35]
	v_mul_f64 v[0:1], v[36:37], v[34:35]
	v_fmac_f64_e32 v[22:23], v[36:37], v[48:49]
	v_fmac_f64_e32 v[6:7], v[58:59], v[50:51]
	s_waitcnt vmcnt(0)
	v_mul_f64 v[24:25], v[12:13], v[20:21]
	v_fma_f64 v[42:43], v[10:11], v[18:19], -v[24:25]
	v_mul_f64 v[34:35], v[10:11], v[20:21]
	v_add_u32_e32 v10, 0xc4, v30
	v_mul_lo_u32 v10, v4, v10
	v_lshlrev_b32_sdwa v24, v32, v10 dst_sel:DWORD dst_unused:UNUSED_PAD src0_sel:DWORD src1_sel:BYTE_0
	v_bfe_u32 v10, v10, 8, 8
	v_fmac_f64_e32 v[34:35], v[12:13], v[18:19]
	v_lshl_or_b32 v25, v10, 4, v68
	global_load_dwordx4 v[10:13], v24, s[8:9]
	global_load_dwordx4 v[18:21], v25, s[8:9]
	v_fma_f64 v[24:25], v[62:63], v[48:49], -v[0:1]
	v_add_u32_e32 v0, 0xf5, v30
	v_mul_lo_u32 v0, v4, v0
	v_lshlrev_b32_sdwa v31, v32, v0 dst_sel:DWORD dst_unused:UNUSED_PAD src0_sel:DWORD src1_sel:BYTE_0
	v_bfe_u32 v0, v0, 8, 8
	v_lshl_or_b32 v33, v0, 4, v68
	v_add_u32_e32 v30, 0x126, v30
	v_mul_lo_u32 v4, v4, v30
	v_lshlrev_b32_sdwa v50, v32, v4 dst_sel:DWORD dst_unused:UNUSED_PAD src0_sel:DWORD src1_sel:BYTE_0
	v_bfe_u32 v4, v4, 8, 8
	v_lshl_or_b32 v4, v4, 4, v68
	s_waitcnt vmcnt(0)
	v_mul_f64 v[0:1], v[12:13], v[20:21]
	v_mul_f64 v[48:49], v[10:11], v[20:21]
	v_fma_f64 v[0:1], v[10:11], v[18:19], -v[0:1]
	v_fmac_f64_e32 v[48:49], v[12:13], v[18:19]
	global_load_dwordx4 v[10:13], v31, s[8:9]
	global_load_dwordx4 v[18:21], v33, s[8:9]
	v_mul_f64 v[30:31], v[40:41], v[34:35]
	v_mul_f64 v[34:35], v[44:45], v[34:35]
	v_fma_f64 v[32:33], v[40:41], v[42:43], -v[34:35]
	global_load_dwordx4 v[34:37], v50, s[8:9]
	global_load_dwordx4 v[38:41], v4, s[8:9]
	v_fmac_f64_e32 v[30:31], v[44:45], v[42:43]
	v_mul_f64 v[42:43], v[56:57], v[48:49]
	v_mul_f64 v[44:45], v[46:47], v[48:49]
	v_fmac_f64_e32 v[42:43], v[46:47], v[0:1]
	v_fma_f64 v[44:45], v[56:57], v[0:1], -v[44:45]
	s_barrier
	s_waitcnt vmcnt(2)
	v_mul_f64 v[0:1], v[12:13], v[20:21]
	v_mul_f64 v[20:21], v[10:11], v[20:21]
	v_fmac_f64_e32 v[20:21], v[12:13], v[18:19]
	v_fma_f64 v[0:1], v[10:11], v[18:19], -v[0:1]
	v_mul_f64 v[10:11], v[64:65], v[20:21]
	v_mul_f64 v[12:13], v[60:61], v[20:21]
	s_waitcnt vmcnt(0)
	v_mul_f64 v[20:21], v[34:35], v[40:41]
	v_fmac_f64_e32 v[10:11], v[60:61], v[0:1]
	v_fma_f64 v[12:13], v[64:65], v[0:1], -v[12:13]
	v_mul_f64 v[0:1], v[36:37], v[40:41]
	v_fmac_f64_e32 v[20:21], v[36:37], v[38:39]
	v_fma_f64 v[0:1], v[34:35], v[38:39], -v[0:1]
	v_mul_f64 v[18:19], v[66:67], v[20:21]
	v_mul_f64 v[20:21], v[26:27], v[20:21]
	v_fmac_f64_e32 v[18:19], v[26:27], v[0:1]
	v_fma_f64 v[20:21], v[66:67], v[0:1], -v[20:21]
	ds_write_b128 v5, v[6:9]
	ds_write_b128 v5, v[14:17] offset:784
	ds_write_b128 v5, v[22:25] offset:1568
	;; [unrolled: 1-line block ×6, first 2 shown]
	s_waitcnt lgkmcnt(0)
	s_barrier
	s_and_saveexec_b64 s[8:9], s[0:1]
	s_cbranch_execz .LBB0_16
; %bb.15:
	v_mad_u64_u32 v[0:1], s[0:1], s6, v2, 0
	v_mov_b32_e32 v4, v1
	v_mad_u64_u32 v[4:5], s[0:1], s7, v2, v[4:5]
	v_mad_u64_u32 v[8:9], s[0:1], s4, v28, 0
	v_mov_b32_e32 v1, v4
	v_mov_b32_e32 v4, v9
	v_mul_u32_u24_e32 v2, 0x1570, v2
	v_mad_u64_u32 v[4:5], s[0:1], s5, v28, v[4:5]
	v_add3_u32 v14, 0, v2, v29
	v_mov_b32_e32 v9, v4
	s_lshl_b64 s[0:1], s[2:3], 4
	ds_read_b128 v[4:7], v14
	s_add_u32 s0, s16, s0
	s_addc_u32 s1, s17, s1
	v_lshl_add_u64 v[12:13], v[0:1], 4, s[0:1]
	v_lshl_add_u64 v[0:1], v[8:9], 4, v[12:13]
	ds_read_b128 v[8:11], v14 offset:784
	s_waitcnt lgkmcnt(1)
	global_store_dwordx4 v[0:1], v[4:7], off
	v_mad_u64_u32 v[0:1], s[0:1], s4, v3, 0
	v_mov_b32_e32 v2, v1
	v_mad_u64_u32 v[2:3], s[0:1], s5, v3, v[2:3]
	v_mov_b32_e32 v1, v2
	v_lshl_add_u64 v[0:1], v[0:1], 4, v[12:13]
	v_add_u32_e32 v7, 0x62, v28
	s_waitcnt lgkmcnt(0)
	global_store_dwordx4 v[0:1], v[8:11], off
	v_mad_u64_u32 v[4:5], s[0:1], s4, v7, 0
	ds_read_b128 v[0:3], v14 offset:1568
	v_mov_b32_e32 v6, v5
	v_mad_u64_u32 v[6:7], s[0:1], s5, v7, v[6:7]
	v_mov_b32_e32 v5, v6
	v_lshl_add_u64 v[8:9], v[4:5], 4, v[12:13]
	ds_read_b128 v[4:7], v14 offset:2352
	s_waitcnt lgkmcnt(1)
	global_store_dwordx4 v[8:9], v[0:3], off
	s_nop 1
	v_add_u32_e32 v3, 0x93, v28
	v_mad_u64_u32 v[0:1], s[0:1], s4, v3, 0
	v_mov_b32_e32 v2, v1
	v_mad_u64_u32 v[2:3], s[0:1], s5, v3, v[2:3]
	v_mov_b32_e32 v1, v2
	v_lshl_add_u64 v[0:1], v[0:1], 4, v[12:13]
	s_waitcnt lgkmcnt(0)
	global_store_dwordx4 v[0:1], v[4:7], off
	ds_read_b128 v[0:3], v14 offset:3136
	s_nop 0
	v_add_u32_e32 v7, 0xc4, v28
	v_mad_u64_u32 v[4:5], s[0:1], s4, v7, 0
	v_mov_b32_e32 v6, v5
	v_mad_u64_u32 v[6:7], s[0:1], s5, v7, v[6:7]
	v_mov_b32_e32 v5, v6
	v_lshl_add_u64 v[8:9], v[4:5], 4, v[12:13]
	ds_read_b128 v[4:7], v14 offset:3920
	s_waitcnt lgkmcnt(1)
	global_store_dwordx4 v[8:9], v[0:3], off
	s_nop 1
	v_add_u32_e32 v3, 0xf5, v28
	v_mad_u64_u32 v[0:1], s[0:1], s4, v3, 0
	v_mov_b32_e32 v2, v1
	v_mad_u64_u32 v[2:3], s[0:1], s5, v3, v[2:3]
	v_mov_b32_e32 v1, v2
	v_lshl_add_u64 v[0:1], v[0:1], 4, v[12:13]
	s_waitcnt lgkmcnt(0)
	global_store_dwordx4 v[0:1], v[4:7], off
	ds_read_b128 v[0:3], v14 offset:4704
	s_nop 0
	v_add_u32_e32 v7, 0x126, v28
	v_mad_u64_u32 v[4:5], s[0:1], s4, v7, 0
	v_mov_b32_e32 v6, v5
	v_mad_u64_u32 v[6:7], s[0:1], s5, v7, v[6:7]
	v_mov_b32_e32 v5, v6
	v_lshl_add_u64 v[4:5], v[4:5], 4, v[12:13]
	s_waitcnt lgkmcnt(0)
	global_store_dwordx4 v[4:5], v[0:3], off
.LBB0_16:
	s_endpgm
	.section	.rodata,"a",@progbits
	.p2align	6, 0x0
	.amdhsa_kernel fft_rtc_back_len343_factors_7_7_7_wgs_245_tpt_49_dp_ip_CI_sbcc_twdbase8_2step
		.amdhsa_group_segment_fixed_size 0
		.amdhsa_private_segment_fixed_size 0
		.amdhsa_kernarg_size 96
		.amdhsa_user_sgpr_count 2
		.amdhsa_user_sgpr_dispatch_ptr 0
		.amdhsa_user_sgpr_queue_ptr 0
		.amdhsa_user_sgpr_kernarg_segment_ptr 1
		.amdhsa_user_sgpr_dispatch_id 0
		.amdhsa_user_sgpr_kernarg_preload_length 0
		.amdhsa_user_sgpr_kernarg_preload_offset 0
		.amdhsa_user_sgpr_private_segment_size 0
		.amdhsa_uses_dynamic_stack 0
		.amdhsa_enable_private_segment 0
		.amdhsa_system_sgpr_workgroup_id_x 1
		.amdhsa_system_sgpr_workgroup_id_y 0
		.amdhsa_system_sgpr_workgroup_id_z 0
		.amdhsa_system_sgpr_workgroup_info 0
		.amdhsa_system_vgpr_workitem_id 0
		.amdhsa_next_free_vgpr 69
		.amdhsa_next_free_sgpr 45
		.amdhsa_accum_offset 72
		.amdhsa_reserve_vcc 1
		.amdhsa_float_round_mode_32 0
		.amdhsa_float_round_mode_16_64 0
		.amdhsa_float_denorm_mode_32 3
		.amdhsa_float_denorm_mode_16_64 3
		.amdhsa_dx10_clamp 1
		.amdhsa_ieee_mode 1
		.amdhsa_fp16_overflow 0
		.amdhsa_tg_split 0
		.amdhsa_exception_fp_ieee_invalid_op 0
		.amdhsa_exception_fp_denorm_src 0
		.amdhsa_exception_fp_ieee_div_zero 0
		.amdhsa_exception_fp_ieee_overflow 0
		.amdhsa_exception_fp_ieee_underflow 0
		.amdhsa_exception_fp_ieee_inexact 0
		.amdhsa_exception_int_div_zero 0
	.end_amdhsa_kernel
	.text
.Lfunc_end0:
	.size	fft_rtc_back_len343_factors_7_7_7_wgs_245_tpt_49_dp_ip_CI_sbcc_twdbase8_2step, .Lfunc_end0-fft_rtc_back_len343_factors_7_7_7_wgs_245_tpt_49_dp_ip_CI_sbcc_twdbase8_2step
                                        ; -- End function
	.section	.AMDGPU.csdata,"",@progbits
; Kernel info:
; codeLenInByte = 6684
; NumSgprs: 51
; NumVgprs: 69
; NumAgprs: 0
; TotalNumVgprs: 69
; ScratchSize: 0
; MemoryBound: 0
; FloatMode: 240
; IeeeMode: 1
; LDSByteSize: 0 bytes/workgroup (compile time only)
; SGPRBlocks: 6
; VGPRBlocks: 8
; NumSGPRsForWavesPerEU: 51
; NumVGPRsForWavesPerEU: 69
; AccumOffset: 72
; Occupancy: 7
; WaveLimiterHint : 1
; COMPUTE_PGM_RSRC2:SCRATCH_EN: 0
; COMPUTE_PGM_RSRC2:USER_SGPR: 2
; COMPUTE_PGM_RSRC2:TRAP_HANDLER: 0
; COMPUTE_PGM_RSRC2:TGID_X_EN: 1
; COMPUTE_PGM_RSRC2:TGID_Y_EN: 0
; COMPUTE_PGM_RSRC2:TGID_Z_EN: 0
; COMPUTE_PGM_RSRC2:TIDIG_COMP_CNT: 0
; COMPUTE_PGM_RSRC3_GFX90A:ACCUM_OFFSET: 17
; COMPUTE_PGM_RSRC3_GFX90A:TG_SPLIT: 0
	.text
	.p2alignl 6, 3212836864
	.fill 256, 4, 3212836864
	.type	__hip_cuid_a89131041f75e2dc,@object ; @__hip_cuid_a89131041f75e2dc
	.section	.bss,"aw",@nobits
	.globl	__hip_cuid_a89131041f75e2dc
__hip_cuid_a89131041f75e2dc:
	.byte	0                               ; 0x0
	.size	__hip_cuid_a89131041f75e2dc, 1

	.ident	"AMD clang version 19.0.0git (https://github.com/RadeonOpenCompute/llvm-project roc-6.4.0 25133 c7fe45cf4b819c5991fe208aaa96edf142730f1d)"
	.section	".note.GNU-stack","",@progbits
	.addrsig
	.addrsig_sym __hip_cuid_a89131041f75e2dc
	.amdgpu_metadata
---
amdhsa.kernels:
  - .agpr_count:     0
    .args:
      - .actual_access:  read_only
        .address_space:  global
        .offset:         0
        .size:           8
        .value_kind:     global_buffer
      - .address_space:  global
        .offset:         8
        .size:           8
        .value_kind:     global_buffer
      - .offset:         16
        .size:           8
        .value_kind:     by_value
      - .actual_access:  read_only
        .address_space:  global
        .offset:         24
        .size:           8
        .value_kind:     global_buffer
      - .actual_access:  read_only
        .address_space:  global
        .offset:         32
        .size:           8
        .value_kind:     global_buffer
      - .offset:         40
        .size:           8
        .value_kind:     by_value
      - .actual_access:  read_only
        .address_space:  global
        .offset:         48
        .size:           8
        .value_kind:     global_buffer
      - .actual_access:  read_only
        .address_space:  global
        .offset:         56
        .size:           8
        .value_kind:     global_buffer
      - .offset:         64
        .size:           4
        .value_kind:     by_value
      - .actual_access:  read_only
        .address_space:  global
        .offset:         72
        .size:           8
        .value_kind:     global_buffer
      - .actual_access:  read_only
        .address_space:  global
        .offset:         80
        .size:           8
        .value_kind:     global_buffer
      - .address_space:  global
        .offset:         88
        .size:           8
        .value_kind:     global_buffer
    .group_segment_fixed_size: 0
    .kernarg_segment_align: 8
    .kernarg_segment_size: 96
    .language:       OpenCL C
    .language_version:
      - 2
      - 0
    .max_flat_workgroup_size: 245
    .name:           fft_rtc_back_len343_factors_7_7_7_wgs_245_tpt_49_dp_ip_CI_sbcc_twdbase8_2step
    .private_segment_fixed_size: 0
    .sgpr_count:     51
    .sgpr_spill_count: 0
    .symbol:         fft_rtc_back_len343_factors_7_7_7_wgs_245_tpt_49_dp_ip_CI_sbcc_twdbase8_2step.kd
    .uniform_work_group_size: 1
    .uses_dynamic_stack: false
    .vgpr_count:     69
    .vgpr_spill_count: 0
    .wavefront_size: 64
amdhsa.target:   amdgcn-amd-amdhsa--gfx950
amdhsa.version:
  - 1
  - 2
...

	.end_amdgpu_metadata
